;; amdgpu-corpus repo=ROCm/rocFFT kind=compiled arch=gfx906 opt=O3
	.text
	.amdgcn_target "amdgcn-amd-amdhsa--gfx906"
	.amdhsa_code_object_version 6
	.protected	bluestein_single_back_len336_dim1_sp_op_CI_CI ; -- Begin function bluestein_single_back_len336_dim1_sp_op_CI_CI
	.globl	bluestein_single_back_len336_dim1_sp_op_CI_CI
	.p2align	8
	.type	bluestein_single_back_len336_dim1_sp_op_CI_CI,@function
bluestein_single_back_len336_dim1_sp_op_CI_CI: ; @bluestein_single_back_len336_dim1_sp_op_CI_CI
; %bb.0:
	s_load_dwordx4 s[0:3], s[4:5], 0x28
	v_mul_u32_u24_e32 v1, 0x493, v0
	v_lshrrev_b32_e32 v1, 16, v1
	v_lshl_add_u32 v36, s6, 1, v1
	v_mov_b32_e32 v37, 0
	s_waitcnt lgkmcnt(0)
	v_cmp_gt_u64_e32 vcc, s[0:1], v[36:37]
	s_and_saveexec_b64 s[0:1], vcc
	s_cbranch_execz .LBB0_23
; %bb.1:
	s_load_dwordx2 s[14:15], s[4:5], 0x0
	s_load_dwordx2 s[12:13], s[4:5], 0x38
	v_mul_lo_u16_e32 v2, 56, v1
	v_sub_u16_e32 v39, v0, v2
	v_and_b32_e32 v0, 1, v1
	v_mov_b32_e32 v1, 0x150
	v_cmp_eq_u32_e32 vcc, 1, v0
	v_cndmask_b32_e32 v28, 0, v1, vcc
	v_cmp_gt_u16_e32 vcc, 42, v39
	v_lshlrev_b32_e32 v40, 3, v39
	v_lshlrev_b32_e32 v41, 3, v28
	s_and_saveexec_b64 s[6:7], vcc
	s_cbranch_execz .LBB0_3
; %bb.2:
	s_load_dwordx2 s[0:1], s[4:5], 0x18
	v_lshl_add_u32 v35, v39, 3, v41
	v_add_u32_e32 v37, v41, v40
	s_waitcnt lgkmcnt(0)
	s_load_dwordx4 s[8:11], s[0:1], 0x0
	s_waitcnt lgkmcnt(0)
	v_mad_u64_u32 v[0:1], s[0:1], s10, v36, 0
	v_mad_u64_u32 v[2:3], s[0:1], s8, v39, 0
	;; [unrolled: 1-line block ×4, first 2 shown]
	v_mov_b32_e32 v1, v4
	v_lshlrev_b64 v[0:1], 3, v[0:1]
	v_mov_b32_e32 v3, v5
	v_mov_b32_e32 v6, s3
	v_lshlrev_b64 v[2:3], 3, v[2:3]
	v_add_co_u32_e64 v0, s[0:1], s2, v0
	v_addc_co_u32_e64 v1, s[0:1], v6, v1, s[0:1]
	v_add_co_u32_e64 v0, s[0:1], v0, v2
	v_addc_co_u32_e64 v1, s[0:1], v1, v3, s[0:1]
	s_mul_i32 s0, s9, 0x150
	s_mul_hi_u32 s1, s8, 0x150
	s_mul_i32 s2, s8, 0x150
	s_add_i32 s0, s1, s0
	v_mov_b32_e32 v17, s0
	v_mov_b32_e32 v22, s0
	;; [unrolled: 1-line block ×7, first 2 shown]
	v_add_co_u32_e64 v16, s[0:1], s2, v0
	v_addc_co_u32_e64 v17, s[0:1], v1, v17, s[0:1]
	global_load_dwordx2 v[2:3], v40, s[14:15]
	global_load_dwordx2 v[4:5], v40, s[14:15] offset:336
	global_load_dwordx2 v[6:7], v40, s[14:15] offset:672
	;; [unrolled: 1-line block ×6, first 2 shown]
	global_load_dwordx2 v[18:19], v[0:1], off
	global_load_dwordx2 v[20:21], v[16:17], off
	v_add_co_u32_e64 v0, s[0:1], s2, v16
	v_addc_co_u32_e64 v1, s[0:1], v17, v22, s[0:1]
	global_load_dwordx2 v[16:17], v[0:1], off
	v_add_co_u32_e64 v0, s[0:1], s2, v0
	v_addc_co_u32_e64 v1, s[0:1], v1, v23, s[0:1]
	;; [unrolled: 3-line block ×6, first 2 shown]
	global_load_dwordx2 v[31:32], v40, s[14:15] offset:2352
	global_load_dwordx2 v[33:34], v[0:1], off
	s_waitcnt vmcnt(8)
	v_mul_f32_e32 v1, v18, v3
	v_mul_f32_e32 v0, v19, v3
	v_fma_f32 v1, v19, v2, -v1
	v_fmac_f32_e32 v0, v18, v2
	s_waitcnt vmcnt(7)
	v_mul_f32_e32 v3, v20, v5
	v_mul_f32_e32 v2, v21, v5
	ds_write_b64 v35, v[0:1]
	s_waitcnt vmcnt(6)
	v_mul_f32_e32 v0, v17, v7
	v_mul_f32_e32 v1, v16, v7
	v_fma_f32 v3, v21, v4, -v3
	v_fmac_f32_e32 v2, v20, v4
	v_fmac_f32_e32 v0, v16, v6
	v_fma_f32 v1, v17, v6, -v1
	s_waitcnt vmcnt(5)
	v_mul_f32_e32 v4, v23, v9
	v_mul_f32_e32 v5, v22, v9
	ds_write2_b64 v37, v[2:3], v[0:1] offset0:42 offset1:84
	s_waitcnt vmcnt(4)
	v_mul_f32_e32 v0, v25, v11
	v_mul_f32_e32 v1, v24, v11
	v_fmac_f32_e32 v4, v22, v8
	v_fma_f32 v5, v23, v8, -v5
	v_fmac_f32_e32 v0, v24, v10
	v_fma_f32 v1, v25, v10, -v1
	s_waitcnt vmcnt(3)
	v_mul_f32_e32 v2, v27, v13
	v_mul_f32_e32 v3, v26, v13
	ds_write2_b64 v37, v[4:5], v[0:1] offset0:126 offset1:168
	v_fmac_f32_e32 v2, v26, v12
	s_waitcnt vmcnt(2)
	v_mul_f32_e32 v0, v30, v15
	v_mul_f32_e32 v1, v29, v15
	v_fma_f32 v3, v27, v12, -v3
	v_fmac_f32_e32 v0, v29, v14
	v_fma_f32 v1, v30, v14, -v1
	ds_write2_b64 v37, v[2:3], v[0:1] offset0:210 offset1:252
	s_waitcnt vmcnt(0)
	v_mul_f32_e32 v0, v34, v32
	v_mul_f32_e32 v1, v33, v32
	v_fmac_f32_e32 v0, v33, v31
	v_fma_f32 v1, v34, v31, -v1
	ds_write_b64 v37, v[0:1] offset:2352
.LBB0_3:
	s_or_b64 exec, exec, s[6:7]
	s_waitcnt lgkmcnt(0)
	s_barrier
	s_waitcnt lgkmcnt(0)
                                        ; implicit-def: $vgpr14
                                        ; implicit-def: $vgpr10
                                        ; implicit-def: $vgpr2
                                        ; implicit-def: $vgpr6
	s_and_saveexec_b64 s[0:1], vcc
	s_cbranch_execz .LBB0_5
; %bb.4:
	v_lshl_add_u32 v12, v28, 3, v40
	ds_read2_b64 v[4:7], v12 offset1:42
	ds_read2_b64 v[0:3], v12 offset0:84 offset1:126
	ds_read2_b64 v[8:11], v12 offset0:168 offset1:210
	v_add_u32_e32 v12, 0x400, v12
	ds_read2_b64 v[12:15], v12 offset0:124 offset1:166
.LBB0_5:
	s_or_b64 exec, exec, s[0:1]
	s_waitcnt lgkmcnt(1)
	v_sub_f32_e32 v8, v4, v8
	v_sub_f32_e32 v9, v5, v9
	s_waitcnt lgkmcnt(0)
	v_sub_f32_e32 v12, v0, v12
	v_sub_f32_e32 v13, v1, v13
	;; [unrolled: 1-line block ×7, first 2 shown]
	v_add_f32_e32 v27, v12, v9
	s_load_dwordx2 s[2:3], s[4:5], 0x8
	v_fma_f32 v4, v4, 2.0, -v8
	v_fma_f32 v5, v5, 2.0, -v9
	;; [unrolled: 1-line block ×10, first 2 shown]
	v_sub_f32_e32 v29, v10, v15
	v_add_f32_e32 v30, v14, v11
	v_sub_f32_e32 v0, v4, v0
	v_sub_f32_e32 v1, v5, v1
	;; [unrolled: 1-line block ×4, first 2 shown]
	v_fma_f32 v10, v10, 2.0, -v29
	v_fma_f32 v11, v11, 2.0, -v30
	v_mov_b32_e32 v22, v8
	v_mov_b32_e32 v23, v9
	;; [unrolled: 1-line block ×4, first 2 shown]
	v_fma_f32 v4, v4, 2.0, -v0
	v_fma_f32 v5, v5, 2.0, -v1
	;; [unrolled: 1-line block ×4, first 2 shown]
	v_fmac_f32_e32 v22, 0xbf3504f3, v10
	v_fmac_f32_e32 v23, 0xbf3504f3, v11
	;; [unrolled: 1-line block ×4, first 2 shown]
	v_sub_f32_e32 v20, v4, v6
	v_sub_f32_e32 v21, v5, v7
	v_fmac_f32_e32 v22, 0xbf3504f3, v11
	v_fmac_f32_e32 v23, 0x3f3504f3, v10
	v_sub_f32_e32 v12, v0, v3
	v_add_f32_e32 v13, v2, v1
	v_fmac_f32_e32 v14, 0xbf3504f3, v30
	v_fmac_f32_e32 v15, 0x3f3504f3, v29
	v_fma_f32 v16, v4, 2.0, -v20
	v_fma_f32 v17, v5, 2.0, -v21
	;; [unrolled: 1-line block ×8, first 2 shown]
	v_lshlrev_b16_e32 v45, 3, v39
	s_waitcnt lgkmcnt(0)
	s_barrier
	s_and_saveexec_b64 s[0:1], vcc
	s_cbranch_execz .LBB0_7
; %bb.6:
	v_add_lshl_u32 v0, v28, v45, 3
	ds_write_b128 v0, v[16:19]
	ds_write_b128 v0, v[24:27] offset:16
	ds_write_b128 v0, v[20:23] offset:32
	;; [unrolled: 1-line block ×3, first 2 shown]
.LBB0_7:
	s_or_b64 exec, exec, s[0:1]
	s_load_dwordx2 s[4:5], s[4:5], 0x20
	v_cmp_gt_u16_e64 s[0:1], 48, v39
	v_add_lshl_u32 v42, v28, v39, 3
	s_waitcnt lgkmcnt(0)
	s_barrier
	s_and_saveexec_b64 s[6:7], s[0:1]
	s_cbranch_execz .LBB0_9
; %bb.8:
	ds_read2_b64 v[16:19], v42 offset1:48
	ds_read2_b64 v[24:27], v42 offset0:96 offset1:144
	ds_read2_b64 v[20:23], v42 offset0:192 offset1:240
	ds_read_b64 v[12:13], v42 offset:2304
.LBB0_9:
	s_or_b64 exec, exec, s[6:7]
	v_and_b32_e32 v44, 7, v39
	v_mul_u32_u24_e32 v0, 6, v44
	v_lshlrev_b32_e32 v29, 3, v0
	global_load_dwordx4 v[0:3], v29, s[2:3]
	global_load_dwordx4 v[8:11], v29, s[2:3] offset:16
	global_load_dwordx4 v[4:7], v29, s[2:3] offset:32
	s_waitcnt vmcnt(0) lgkmcnt(0)
	s_barrier
	v_mul_f32_e32 v29, v19, v1
	v_mul_f32_e32 v30, v18, v1
	;; [unrolled: 1-line block ×12, first 2 shown]
	v_fma_f32 v31, v24, v2, -v31
	v_fmac_f32_e32 v32, v25, v2
	v_fmac_f32_e32 v34, v27, v8
	v_fma_f32 v27, v20, v10, -v35
	v_fmac_f32_e32 v37, v21, v10
	v_fma_f32 v21, v22, v4, -v38
	;; [unrolled: 2-line block ×5, first 2 shown]
	v_add_f32_e32 v18, v20, v12
	v_add_f32_e32 v19, v31, v21
	;; [unrolled: 1-line block ×6, first 2 shown]
	v_sub_f32_e32 v24, v20, v12
	v_sub_f32_e32 v20, v30, v47
	;; [unrolled: 1-line block ×6, first 2 shown]
	v_add_f32_e32 v27, v19, v18
	v_add_f32_e32 v30, v23, v22
	v_sub_f32_e32 v31, v18, v13
	v_sub_f32_e32 v32, v22, v29
	;; [unrolled: 1-line block ×3, first 2 shown]
	v_add_f32_e32 v35, v12, v25
	v_sub_f32_e32 v37, v12, v25
	v_sub_f32_e32 v12, v24, v12
	v_add_f32_e32 v38, v26, v21
	v_sub_f32_e32 v43, v26, v21
	v_sub_f32_e32 v26, v20, v26
	v_add_f32_e32 v13, v13, v27
	v_add_f32_e32 v46, v29, v30
	;; [unrolled: 1-line block ×3, first 2 shown]
	v_mul_f32_e32 v30, 0x3f4a47b2, v31
	v_mul_f32_e32 v38, 0x3f4a47b2, v32
	;; [unrolled: 1-line block ×4, first 2 shown]
	v_add_f32_e32 v16, v16, v13
	v_add_f32_e32 v17, v17, v46
	v_sub_f32_e32 v34, v29, v23
	v_add_f32_e32 v49, v35, v24
	v_mov_b32_e32 v12, v30
	v_mov_b32_e32 v35, v38
	;; [unrolled: 1-line block ×6, first 2 shown]
	v_fmac_f32_e32 v12, 0x3d64c772, v33
	v_fmac_f32_e32 v35, 0x3d64c772, v34
	;; [unrolled: 1-line block ×8, first 2 shown]
	v_add_f32_e32 v32, v12, v29
	v_add_f32_e32 v35, v35, v47
	v_sub_f32_e32 v12, v32, v27
	v_add_f32_e32 v13, v26, v35
	v_lshrrev_b32_e32 v46, 3, v39
	s_and_saveexec_b64 s[6:7], s[0:1]
	s_cbranch_execz .LBB0_11
; %bb.10:
	s_mov_b32 s9, 0xbf3bfb3b
	v_sub_f32_e32 v18, v19, v18
	v_sub_f32_e32 v24, v25, v24
	s_mov_b32 s8, 0xbf5ff5aa
	v_fma_f32 v19, v18, s9, -v30
	v_sub_f32_e32 v20, v21, v20
	v_mul_f32_e32 v34, 0x3d64c772, v34
	v_mul_f32_e32 v50, 0x3ee1c552, v50
	v_fma_f32 v25, v24, s8, -v48
	v_sub_f32_e32 v23, v23, v22
	v_add_f32_e32 v48, v19, v29
	v_fma_f32 v19, v20, s8, -v31
	s_mov_b32 s8, 0x3f3bfb3b
	v_mul_f32_e32 v33, 0x3d64c772, v33
	v_mul_f32_e32 v37, 0xbf08b237, v37
	;; [unrolled: 1-line block ×3, first 2 shown]
	v_fma_f32 v22, v23, s9, -v38
	v_add_f32_e32 v31, v50, v19
	v_fma_f32 v19, v23, s8, -v34
	s_mov_b32 s9, 0x3f5ff5aa
	v_mul_f32_e32 v49, 0x3ee1c552, v49
	v_add_f32_e32 v23, v19, v47
	v_fma_f32 v19, v24, s9, -v37
	v_fma_f32 v20, v20, s9, -v43
	;; [unrolled: 1-line block ×3, first 2 shown]
	v_add_f32_e32 v24, v49, v19
	v_add_f32_e32 v20, v50, v20
	;; [unrolled: 1-line block ×3, first 2 shown]
	v_sub_f32_e32 v19, v23, v24
	v_add_f32_e32 v18, v20, v29
	v_add_f32_e32 v24, v24, v23
	v_sub_f32_e32 v23, v29, v20
	v_mul_u32_u24_e32 v20, 56, v46
	v_add_f32_e32 v25, v49, v25
	v_add_f32_e32 v38, v22, v47
	v_or_b32_e32 v20, v20, v44
	v_add_f32_e32 v22, v25, v38
	v_sub_f32_e32 v30, v38, v25
	v_sub_f32_e32 v26, v35, v26
	v_add_f32_e32 v25, v27, v32
	v_add_lshl_u32 v20, v28, v20, 3
	v_sub_f32_e32 v21, v48, v31
	v_add_f32_e32 v29, v31, v48
	ds_write2_b64 v20, v[16:17], v[25:26] offset1:8
	ds_write2_b64 v20, v[29:30], v[23:24] offset0:16 offset1:24
	ds_write2_b64 v20, v[18:19], v[21:22] offset0:32 offset1:40
	ds_write_b64 v20, v[12:13] offset:384
.LBB0_11:
	s_or_b64 exec, exec, s[6:7]
	v_mad_u64_u32 v[24:25], s[2:3], v39, 40, s[2:3]
	s_load_dwordx4 s[4:7], s[4:5], 0x0
	s_waitcnt lgkmcnt(0)
	s_barrier
	global_load_dwordx4 v[20:23], v[24:25], off offset:384
	global_load_dwordx4 v[16:19], v[24:25], off offset:400
	global_load_dwordx2 v[37:38], v[24:25], off offset:416
	v_add_u32_e32 v32, 0x400, v42
	ds_read2_b64 v[24:27], v42 offset1:56
	ds_read2_b64 v[28:31], v42 offset0:112 offset1:168
	ds_read2_b64 v[32:35], v32 offset0:96 offset1:152
	v_lshl_add_u32 v43, v39, 3, v41
	v_add_u32_e32 v47, 0x400, v43
	s_waitcnt vmcnt(2) lgkmcnt(2)
	v_mul_f32_e32 v49, v26, v21
	s_waitcnt lgkmcnt(1)
	v_mul_f32_e32 v50, v29, v23
	v_mul_f32_e32 v51, v28, v23
	s_waitcnt vmcnt(1)
	v_mul_f32_e32 v52, v31, v17
	v_mul_f32_e32 v53, v30, v17
	s_waitcnt lgkmcnt(0)
	v_mul_f32_e32 v55, v32, v19
	s_waitcnt vmcnt(0)
	v_mul_f32_e32 v56, v35, v38
	v_mul_f32_e32 v57, v34, v38
	v_mul_f32_e32 v48, v27, v21
	v_mul_f32_e32 v54, v33, v19
	v_fmac_f32_e32 v49, v27, v20
	v_fma_f32 v27, v28, v22, -v50
	v_fmac_f32_e32 v51, v29, v22
	v_fma_f32 v28, v30, v16, -v52
	v_fmac_f32_e32 v53, v31, v16
	v_fmac_f32_e32 v55, v33, v18
	v_fma_f32 v30, v34, v37, -v56
	v_fmac_f32_e32 v57, v35, v37
	v_fma_f32 v26, v26, v20, -v48
	v_fma_f32 v29, v32, v18, -v54
	v_sub_f32_e32 v33, v51, v55
	v_add_f32_e32 v34, v25, v51
	v_add_f32_e32 v35, v51, v55
	;; [unrolled: 1-line block ×3, first 2 shown]
	v_sub_f32_e32 v51, v53, v57
	v_add_f32_e32 v52, v49, v53
	v_add_f32_e32 v53, v53, v57
	;; [unrolled: 1-line block ×5, first 2 shown]
	v_fma_f32 v35, -0.5, v35, v25
	v_fmac_f32_e32 v26, -0.5, v50
	v_fmac_f32_e32 v49, -0.5, v53
	v_sub_f32_e32 v27, v27, v29
	v_sub_f32_e32 v28, v28, v30
	v_add_f32_e32 v29, v31, v29
	v_fma_f32 v32, -0.5, v32, v24
	v_add_f32_e32 v31, v34, v55
	v_add_f32_e32 v34, v52, v57
	v_mov_b32_e32 v50, v35
	v_mov_b32_e32 v52, v26
	v_fmac_f32_e32 v26, 0xbf5db3d7, v51
	v_mov_b32_e32 v53, v49
	v_add_f32_e32 v30, v48, v30
	v_mov_b32_e32 v48, v32
	v_fmac_f32_e32 v35, 0x3f5db3d7, v27
	v_fmac_f32_e32 v49, 0x3f5db3d7, v28
	;; [unrolled: 1-line block ×5, first 2 shown]
	v_mul_f32_e32 v27, -0.5, v26
	v_fmac_f32_e32 v32, 0xbf5db3d7, v33
	v_fmac_f32_e32 v48, 0x3f5db3d7, v33
	v_mul_f32_e32 v33, -0.5, v49
	v_mul_f32_e32 v51, 0x3f5db3d7, v53
	v_fmac_f32_e32 v27, 0x3f5db3d7, v49
	v_mul_f32_e32 v49, 0xbf5db3d7, v52
	v_fmac_f32_e32 v33, 0xbf5db3d7, v26
	v_fmac_f32_e32 v51, 0.5, v52
	v_fmac_f32_e32 v49, 0.5, v53
	v_add_f32_e32 v24, v29, v30
	v_add_f32_e32 v25, v31, v34
	v_sub_f32_e32 v30, v29, v30
	v_sub_f32_e32 v31, v31, v34
	v_add_f32_e32 v28, v32, v27
	v_add_f32_e32 v29, v35, v33
	v_sub_f32_e32 v34, v32, v27
	v_sub_f32_e32 v35, v35, v33
	;; [unrolled: 4-line block ×3, first 2 shown]
	ds_write2_b64 v43, v[28:29], v[30:31] offset0:112 offset1:168
	ds_write2_b64 v43, v[24:25], v[26:27] offset1:56
	ds_write2_b64 v47, v[32:33], v[34:35] offset0:96 offset1:152
	s_waitcnt lgkmcnt(0)
	s_barrier
	s_and_saveexec_b64 s[2:3], vcc
	s_cbranch_execz .LBB0_13
; %bb.12:
	global_load_dwordx2 v[52:53], v40, s[14:15] offset:2688
	ds_read2_b64 v[48:51], v43 offset1:42
	s_add_u32 s8, s14, 0xa80
	s_addc_u32 s9, s15, 0
	s_waitcnt vmcnt(0) lgkmcnt(0)
	v_mul_f32_e32 v54, v49, v53
	v_mul_f32_e32 v55, v48, v53
	v_fma_f32 v54, v48, v52, -v54
	v_fmac_f32_e32 v55, v49, v52
	global_load_dwordx2 v[48:49], v40, s[8:9] offset:336
	s_waitcnt vmcnt(0)
	v_mul_f32_e32 v52, v51, v49
	v_mul_f32_e32 v53, v50, v49
	v_fma_f32 v52, v50, v48, -v52
	v_fmac_f32_e32 v53, v51, v48
	ds_write2_b64 v43, v[54:55], v[52:53] offset1:42
	global_load_dwordx2 v[52:53], v40, s[8:9] offset:672
	ds_read2_b64 v[48:51], v43 offset0:84 offset1:126
	s_waitcnt vmcnt(0) lgkmcnt(0)
	v_mul_f32_e32 v54, v49, v53
	v_mul_f32_e32 v55, v48, v53
	v_fma_f32 v54, v48, v52, -v54
	v_fmac_f32_e32 v55, v49, v52
	global_load_dwordx2 v[48:49], v40, s[8:9] offset:1008
	s_waitcnt vmcnt(0)
	v_mul_f32_e32 v52, v51, v49
	v_mul_f32_e32 v53, v50, v49
	v_fma_f32 v52, v50, v48, -v52
	v_fmac_f32_e32 v53, v51, v48
	ds_write2_b64 v43, v[54:55], v[52:53] offset0:84 offset1:126
	global_load_dwordx2 v[52:53], v40, s[8:9] offset:1344
	ds_read2_b64 v[48:51], v43 offset0:168 offset1:210
	s_waitcnt vmcnt(0) lgkmcnt(0)
	v_mul_f32_e32 v54, v49, v53
	v_mul_f32_e32 v55, v48, v53
	v_fma_f32 v54, v48, v52, -v54
	v_fmac_f32_e32 v55, v49, v52
	global_load_dwordx2 v[48:49], v40, s[8:9] offset:1680
	s_waitcnt vmcnt(0)
	v_mul_f32_e32 v52, v51, v49
	v_mul_f32_e32 v53, v50, v49
	v_fma_f32 v52, v50, v48, -v52
	v_fmac_f32_e32 v53, v51, v48
	ds_write2_b64 v43, v[54:55], v[52:53] offset0:168 offset1:210
	global_load_dwordx2 v[52:53], v40, s[8:9] offset:2016
	ds_read2_b64 v[48:51], v47 offset0:124 offset1:166
	s_waitcnt vmcnt(0) lgkmcnt(0)
	v_mul_f32_e32 v54, v49, v53
	v_mul_f32_e32 v55, v48, v53
	v_fma_f32 v54, v48, v52, -v54
	v_fmac_f32_e32 v55, v49, v52
	global_load_dwordx2 v[48:49], v40, s[8:9] offset:2352
	s_waitcnt vmcnt(0)
	v_mul_f32_e32 v52, v51, v49
	v_mul_f32_e32 v53, v50, v49
	v_fma_f32 v52, v50, v48, -v52
	v_fmac_f32_e32 v53, v51, v48
	ds_write2_b64 v47, v[54:55], v[52:53] offset0:124 offset1:166
.LBB0_13:
	s_or_b64 exec, exec, s[2:3]
	s_waitcnt lgkmcnt(0)
	s_barrier
	s_and_saveexec_b64 s[2:3], vcc
	s_cbranch_execz .LBB0_15
; %bb.14:
	ds_read2_b64 v[24:27], v43 offset1:42
	ds_read2_b64 v[28:31], v43 offset0:84 offset1:126
	ds_read2_b64 v[32:35], v43 offset0:168 offset1:210
	v_add_u32_e32 v12, 0x400, v43
	ds_read2_b64 v[12:15], v12 offset0:124 offset1:166
.LBB0_15:
	s_or_b64 exec, exec, s[2:3]
	s_waitcnt lgkmcnt(1)
	v_sub_f32_e32 v32, v24, v32
	v_sub_f32_e32 v33, v25, v33
	s_waitcnt lgkmcnt(0)
	v_sub_f32_e32 v12, v28, v12
	v_sub_f32_e32 v13, v29, v13
	;; [unrolled: 1-line block ×6, first 2 shown]
	v_fma_f32 v26, v26, 2.0, -v34
	v_fma_f32 v27, v27, 2.0, -v35
	;; [unrolled: 1-line block ×4, first 2 shown]
	v_add_f32_e32 v49, v13, v32
	v_sub_f32_e32 v50, v33, v12
	v_fma_f32 v24, v24, 2.0, -v32
	v_fma_f32 v25, v25, 2.0, -v33
	;; [unrolled: 1-line block ×4, first 2 shown]
	v_sub_f32_e32 v30, v26, v30
	v_sub_f32_e32 v31, v27, v31
	v_add_f32_e32 v51, v15, v34
	v_sub_f32_e32 v52, v35, v14
	v_fma_f32 v28, v28, 2.0, -v12
	v_fma_f32 v29, v29, 2.0, -v13
	;; [unrolled: 1-line block ×6, first 2 shown]
	v_mov_b32_e32 v26, v32
	v_mov_b32_e32 v27, v33
	v_sub_f32_e32 v28, v24, v28
	v_sub_f32_e32 v29, v25, v29
	v_fmac_f32_e32 v26, 0xbf3504f3, v14
	v_fmac_f32_e32 v27, 0xbf3504f3, v15
	v_mov_b32_e32 v34, v49
	v_mov_b32_e32 v35, v50
	v_fma_f32 v47, v24, 2.0, -v28
	v_fma_f32 v48, v25, 2.0, -v29
	v_fmac_f32_e32 v26, 0x3f3504f3, v15
	v_fmac_f32_e32 v27, 0xbf3504f3, v14
	;; [unrolled: 1-line block ×4, first 2 shown]
	v_sub_f32_e32 v24, v47, v12
	v_sub_f32_e32 v25, v48, v13
	v_fma_f32 v14, v32, 2.0, -v26
	v_fma_f32 v15, v33, 2.0, -v27
	v_add_f32_e32 v32, v31, v28
	v_sub_f32_e32 v33, v29, v30
	v_fmac_f32_e32 v34, 0x3f3504f3, v52
	v_fmac_f32_e32 v35, 0xbf3504f3, v51
	v_fma_f32 v12, v47, 2.0, -v24
	v_fma_f32 v13, v48, 2.0, -v25
	;; [unrolled: 1-line block ×6, first 2 shown]
	s_barrier
	s_and_saveexec_b64 s[2:3], vcc
	s_cbranch_execz .LBB0_17
; %bb.16:
	v_lshl_add_u32 v45, v45, 3, v41
	ds_write_b128 v45, v[12:15]
	ds_write_b128 v45, v[28:31] offset:16
	ds_write_b128 v45, v[24:27] offset:32
	;; [unrolled: 1-line block ×3, first 2 shown]
.LBB0_17:
	s_or_b64 exec, exec, s[2:3]
	s_waitcnt lgkmcnt(0)
	s_barrier
	s_and_saveexec_b64 s[2:3], s[0:1]
	s_cbranch_execz .LBB0_19
; %bb.18:
	ds_read2_b64 v[12:15], v42 offset1:48
	ds_read2_b64 v[28:31], v42 offset0:96 offset1:144
	ds_read2_b64 v[24:27], v42 offset0:192 offset1:240
	ds_read_b64 v[32:33], v42 offset:2304
.LBB0_19:
	s_or_b64 exec, exec, s[2:3]
	s_waitcnt lgkmcnt(0)
	s_barrier
	s_and_saveexec_b64 s[2:3], s[0:1]
	s_cbranch_execz .LBB0_21
; %bb.20:
	v_mul_f32_e32 v34, v1, v15
	v_mul_f32_e32 v35, v7, v33
	;; [unrolled: 1-line block ×4, first 2 shown]
	v_fmac_f32_e32 v34, v0, v14
	v_fmac_f32_e32 v35, v6, v32
	v_mul_f32_e32 v48, v9, v31
	v_fma_f32 v6, v6, v33, -v7
	v_fma_f32 v7, v0, v15, -v1
	v_mul_f32_e32 v0, v9, v30
	v_fmac_f32_e32 v48, v8, v30
	v_fma_f32 v8, v8, v31, -v0
	v_mul_f32_e32 v0, v11, v24
	v_fma_f32 v9, v10, v25, -v0
	v_add_f32_e32 v14, v6, v7
	v_add_f32_e32 v0, v9, v8
	v_mul_f32_e32 v47, v11, v25
	v_sub_f32_e32 v1, v14, v0
	v_fmac_f32_e32 v47, v10, v24
	v_mul_f32_e32 v52, v5, v27
	v_mul_f32_e32 v10, 0x3f4a47b2, v1
	;; [unrolled: 1-line block ×4, first 2 shown]
	v_fmac_f32_e32 v52, v4, v26
	v_fma_f32 v4, v4, v27, -v1
	v_mul_f32_e32 v1, v3, v28
	v_fmac_f32_e32 v51, v2, v28
	v_fma_f32 v2, v2, v29, -v1
	v_add_f32_e32 v5, v4, v2
	v_sub_f32_e32 v1, v0, v5
	v_mov_b32_e32 v3, v10
	v_mul_f32_e32 v11, 0x3d64c772, v1
	v_fmac_f32_e32 v3, 0x3d64c772, v1
	v_add_f32_e32 v1, v5, v14
	v_add_f32_e32 v0, v0, v1
	;; [unrolled: 1-line block ×3, first 2 shown]
	v_mov_b32_e32 v13, v1
	v_fmac_f32_e32 v13, 0xbf955555, v0
	v_add_f32_e32 v24, v35, v34
	v_add_f32_e32 v0, v47, v48
	v_sub_f32_e32 v25, v24, v0
	v_mul_f32_e32 v25, 0x3f4a47b2, v25
	v_add_f32_e32 v26, v52, v51
	v_sub_f32_e32 v27, v0, v26
	v_mov_b32_e32 v29, v25
	v_mul_f32_e32 v28, 0x3d64c772, v27
	v_fmac_f32_e32 v29, 0x3d64c772, v27
	v_add_f32_e32 v27, v26, v24
	v_sub_f32_e32 v6, v7, v6
	v_sub_f32_e32 v7, v9, v8
	;; [unrolled: 1-line block ×3, first 2 shown]
	v_add_f32_e32 v27, v0, v27
	v_sub_f32_e32 v2, v7, v4
	v_sub_f32_e32 v45, v34, v35
	;; [unrolled: 1-line block ×3, first 2 shown]
	v_add_f32_e32 v0, v12, v27
	v_mul_f32_e32 v9, 0x3f08b237, v2
	v_add_f32_e32 v2, v7, v4
	v_sub_f32_e32 v49, v47, v48
	v_mov_b32_e32 v12, v0
	v_sub_f32_e32 v8, v6, v7
	v_add_f32_e32 v30, v2, v6
	v_sub_f32_e32 v7, v53, v45
	v_sub_f32_e32 v6, v4, v6
	;; [unrolled: 1-line block ×4, first 2 shown]
	v_fmac_f32_e32 v12, 0xbf955555, v27
	v_mul_f32_e32 v31, 0xbf5ff5aa, v7
	s_mov_b32 s1, 0x3eae86e6
	v_mul_f32_e32 v4, 0xbf5ff5aa, v6
	v_mul_f32_e32 v54, 0x3f08b237, v54
	v_add_f32_e32 v27, v29, v12
	v_mov_b32_e32 v29, v9
	v_fma_f32 v31, v50, s1, -v31
	v_sub_f32_e32 v14, v5, v14
	s_mov_b32 s8, 0xbf3bfb3b
	v_sub_f32_e32 v24, v26, v24
	v_fma_f32 v26, v8, s1, -v4
	s_mov_b32 s1, 0x3f3bfb3b
	v_mov_b32_e32 v55, v54
	v_add_f32_e32 v49, v49, v53
	v_fmac_f32_e32 v29, 0xbeae86e6, v8
	s_mov_b32 s0, 0xbf5ff5aa
	v_fma_f32 v5, v14, s8, -v10
	v_fma_f32 v8, v14, s1, -v11
	v_fmac_f32_e32 v55, 0xbeae86e6, v50
	v_add_f32_e32 v49, v49, v45
	v_add_f32_e32 v15, v3, v13
	;; [unrolled: 1-line block ×3, first 2 shown]
	v_fma_f32 v25, v24, s8, -v25
	v_add_f32_e32 v8, v8, v13
	v_fma_f32 v11, v7, s0, -v54
	v_fma_f32 v13, v6, s0, -v9
	;; [unrolled: 1-line block ×3, first 2 shown]
	v_mul_u32_u24_e32 v14, 56, v46
	v_fmac_f32_e32 v55, 0xbee1c552, v49
	v_fmac_f32_e32 v29, 0xbee1c552, v30
	v_add_f32_e32 v25, v25, v12
	v_fmac_f32_e32 v11, 0xbee1c552, v49
	v_fmac_f32_e32 v13, 0xbee1c552, v30
	v_add_f32_e32 v12, v6, v12
	v_or_b32_e32 v14, v14, v44
	v_fmac_f32_e32 v31, 0xbee1c552, v49
	v_fmac_f32_e32 v26, 0xbee1c552, v30
	v_sub_f32_e32 v7, v8, v11
	v_add_f32_e32 v6, v13, v12
	v_add_f32_e32 v9, v11, v8
	v_sub_f32_e32 v8, v12, v13
	v_sub_f32_e32 v13, v15, v55
	v_add_f32_e32 v12, v29, v27
	v_lshl_add_u32 v14, v14, 3, v41
	v_add_f32_e32 v3, v55, v15
	v_sub_f32_e32 v2, v27, v29
	v_add_f32_e32 v5, v31, v10
	v_sub_f32_e32 v4, v25, v26
	v_sub_f32_e32 v11, v10, v31
	v_add_f32_e32 v10, v26, v25
	ds_write2_b64 v14, v[0:1], v[12:13] offset1:8
	ds_write2_b64 v14, v[10:11], v[8:9] offset0:16 offset1:24
	ds_write2_b64 v14, v[6:7], v[4:5] offset0:32 offset1:40
	ds_write_b64 v14, v[2:3] offset:384
.LBB0_21:
	s_or_b64 exec, exec, s[2:3]
	s_waitcnt lgkmcnt(0)
	s_barrier
	ds_read2_b64 v[0:3], v42 offset1:56
	ds_read2_b64 v[4:7], v42 offset0:112 offset1:168
	v_add_u32_e32 v8, 0x400, v42
	ds_read2_b64 v[8:11], v8 offset0:96 offset1:152
	s_waitcnt lgkmcnt(2)
	v_mul_f32_e32 v12, v21, v3
	v_fmac_f32_e32 v12, v20, v2
	v_mul_f32_e32 v2, v21, v2
	v_fma_f32 v13, v20, v3, -v2
	s_waitcnt lgkmcnt(1)
	v_mul_f32_e32 v2, v23, v5
	v_mul_f32_e32 v3, v23, v4
	v_fmac_f32_e32 v2, v22, v4
	v_fma_f32 v3, v22, v5, -v3
	v_mul_f32_e32 v4, v17, v7
	v_mul_f32_e32 v5, v17, v6
	v_fmac_f32_e32 v4, v16, v6
	v_fma_f32 v5, v16, v7, -v5
	s_waitcnt lgkmcnt(0)
	v_mul_f32_e32 v6, v19, v9
	v_mul_f32_e32 v7, v19, v8
	v_fmac_f32_e32 v6, v18, v8
	v_fma_f32 v7, v18, v9, -v7
	v_mul_f32_e32 v9, v38, v10
	v_mul_f32_e32 v8, v38, v11
	v_fma_f32 v9, v37, v11, -v9
	v_add_f32_e32 v11, v2, v6
	v_fma_f32 v11, -0.5, v11, v0
	v_fmac_f32_e32 v8, v37, v10
	v_add_f32_e32 v10, v0, v2
	v_sub_f32_e32 v0, v3, v7
	v_mov_b32_e32 v14, v11
	v_fmac_f32_e32 v14, 0xbf5db3d7, v0
	v_fmac_f32_e32 v11, 0x3f5db3d7, v0
	v_add_f32_e32 v0, v1, v3
	v_add_f32_e32 v15, v0, v7
	v_add_f32_e32 v0, v3, v7
	v_fma_f32 v16, -0.5, v0, v1
	v_sub_f32_e32 v0, v2, v6
	v_mov_b32_e32 v17, v16
	v_fmac_f32_e32 v17, 0x3f5db3d7, v0
	v_fmac_f32_e32 v16, 0xbf5db3d7, v0
	v_add_f32_e32 v0, v12, v4
	v_add_f32_e32 v10, v10, v6
	;; [unrolled: 1-line block ×4, first 2 shown]
	v_fmac_f32_e32 v12, -0.5, v0
	v_sub_f32_e32 v0, v5, v9
	v_mov_b32_e32 v3, v12
	v_fmac_f32_e32 v3, 0xbf5db3d7, v0
	v_fmac_f32_e32 v12, 0x3f5db3d7, v0
	v_add_f32_e32 v0, v13, v5
	v_add_f32_e32 v7, v0, v9
	;; [unrolled: 1-line block ×3, first 2 shown]
	v_fmac_f32_e32 v13, -0.5, v0
	v_sub_f32_e32 v0, v4, v8
	v_mov_b32_e32 v5, v13
	v_fmac_f32_e32 v5, 0x3f5db3d7, v0
	v_fmac_f32_e32 v13, 0xbf5db3d7, v0
	v_mul_f32_e32 v8, 0xbf5db3d7, v5
	v_mul_f32_e32 v18, 0.5, v5
	v_fmac_f32_e32 v8, 0.5, v3
	v_mul_f32_e32 v9, 0xbf5db3d7, v13
	v_fmac_f32_e32 v18, 0x3f5db3d7, v3
	v_mul_f32_e32 v13, -0.5, v13
	v_add_f32_e32 v0, v10, v6
	v_add_f32_e32 v2, v14, v8
	v_fmac_f32_e32 v9, -0.5, v12
	v_add_f32_e32 v1, v15, v7
	v_add_f32_e32 v3, v17, v18
	v_fmac_f32_e32 v13, 0x3f5db3d7, v12
	v_add_f32_e32 v4, v11, v9
	v_add_f32_e32 v5, v16, v13
	v_sub_f32_e32 v6, v10, v6
	v_sub_f32_e32 v8, v14, v8
	;; [unrolled: 1-line block ×6, first 2 shown]
	ds_write2_b64 v43, v[0:1], v[2:3] offset1:56
	ds_write2_b64 v43, v[4:5], v[6:7] offset0:112 offset1:168
	v_add_u32_e32 v0, 0x400, v43
	ds_write2_b64 v0, v[8:9], v[10:11] offset0:96 offset1:152
	s_waitcnt lgkmcnt(0)
	s_barrier
	s_and_b64 exec, exec, vcc
	s_cbranch_execz .LBB0_23
; %bb.22:
	global_load_dwordx2 v[8:9], v40, s[14:15]
	global_load_dwordx2 v[10:11], v40, s[14:15] offset:336
	global_load_dwordx2 v[12:13], v40, s[14:15] offset:672
	;; [unrolled: 1-line block ×4, first 2 shown]
	ds_read2_b64 v[0:3], v43 offset0:42 offset1:84
	ds_read2_b64 v[4:7], v43 offset0:126 offset1:168
	ds_read_b64 v[22:23], v43
	ds_read_b64 v[24:25], v43 offset:2352
	global_load_dwordx2 v[26:27], v40, s[14:15] offset:1680
	global_load_dwordx2 v[28:29], v40, s[14:15] offset:2016
	;; [unrolled: 1-line block ×3, first 2 shown]
	v_mad_u64_u32 v[18:19], s[0:1], s6, v36, 0
	v_mad_u64_u32 v[20:21], s[2:3], s4, v39, 0
	s_mul_i32 s3, s5, 0x150
	s_mul_hi_u32 s6, s4, 0x150
	s_add_i32 s3, s6, s3
	v_mad_u64_u32 v[32:33], s[6:7], s7, v36, v[19:20]
	s_mul_i32 s2, s4, 0x150
	s_waitcnt lgkmcnt(1)
	v_mad_u64_u32 v[33:34], s[4:5], s5, v39, v[21:22]
	v_mov_b32_e32 v19, v32
	v_lshlrev_b64 v[18:19], 3, v[18:19]
	v_mov_b32_e32 v21, v33
	v_mov_b32_e32 v35, s13
	v_lshlrev_b64 v[20:21], 3, v[20:21]
	v_add_co_u32_e32 v18, vcc, s12, v18
	v_addc_co_u32_e32 v19, vcc, v35, v19, vcc
	v_add_co_u32_e32 v18, vcc, v18, v20
	v_addc_co_u32_e32 v19, vcc, v19, v21, vcc
	v_mov_b32_e32 v37, s3
	v_add_co_u32_e32 v20, vcc, s2, v18
	v_addc_co_u32_e32 v21, vcc, v19, v37, vcc
	v_mov_b32_e32 v34, s3
	v_add_co_u32_e32 v32, vcc, s2, v20
	v_addc_co_u32_e32 v33, vcc, v21, v34, vcc
	s_mov_b32 s0, 0x18618618
	s_mov_b32 s1, 0x3f686186
	v_mov_b32_e32 v36, s3
	s_waitcnt vmcnt(7)
	v_mul_f32_e32 v34, v23, v9
	v_mul_f32_e32 v9, v22, v9
	s_waitcnt vmcnt(6)
	v_mul_f32_e32 v35, v1, v11
	v_mul_f32_e32 v11, v0, v11
	s_waitcnt vmcnt(5)
	v_mul_f32_e32 v37, v3, v13
	v_mul_f32_e32 v13, v2, v13
	v_fmac_f32_e32 v34, v22, v8
	v_fma_f32 v8, v8, v23, -v9
	s_waitcnt vmcnt(4)
	v_mul_f32_e32 v38, v5, v15
	v_mul_f32_e32 v15, v4, v15
	v_fmac_f32_e32 v35, v0, v10
	v_fma_f32 v9, v10, v1, -v11
	v_fmac_f32_e32 v37, v2, v12
	v_fma_f32 v12, v12, v3, -v13
	v_cvt_f64_f32_e32 v[0:1], v34
	v_cvt_f64_f32_e32 v[2:3], v8
	v_fmac_f32_e32 v38, v4, v14
	v_fma_f32 v22, v14, v5, -v15
	v_cvt_f64_f32_e32 v[4:5], v35
	v_cvt_f64_f32_e32 v[8:9], v9
	;; [unrolled: 1-line block ×4, first 2 shown]
	v_mul_f64 v[0:1], v[0:1], s[0:1]
	v_mul_f64 v[2:3], v[2:3], s[0:1]
	v_cvt_f64_f32_e32 v[14:15], v38
	v_cvt_f64_f32_e32 v[22:23], v22
	v_mul_f64 v[4:5], v[4:5], s[0:1]
	v_mul_f64 v[8:9], v[8:9], s[0:1]
	;; [unrolled: 1-line block ×6, first 2 shown]
	v_cvt_f32_f64_e32 v0, v[0:1]
	v_cvt_f32_f64_e32 v1, v[2:3]
	;; [unrolled: 1-line block ×6, first 2 shown]
	s_waitcnt vmcnt(3)
	v_mul_f32_e32 v39, v7, v17
	v_mul_f32_e32 v17, v6, v17
	v_fmac_f32_e32 v39, v6, v16
	global_store_dwordx2 v[18:19], v[0:1], off
	global_store_dwordx2 v[20:21], v[2:3], off
	;; [unrolled: 1-line block ×3, first 2 shown]
	v_fma_f32 v0, v16, v7, -v17
	v_cvt_f64_f32_e32 v[34:35], v39
	v_cvt_f32_f64_e32 v8, v[14:15]
	v_cvt_f32_f64_e32 v9, v[22:23]
	v_cvt_f64_f32_e32 v[4:5], v0
	ds_read2_b64 v[0:3], v43 offset0:210 offset1:252
	v_add_co_u32_e32 v6, vcc, s2, v32
	v_addc_co_u32_e32 v7, vcc, v33, v36, vcc
	global_store_dwordx2 v[6:7], v[8:9], off
	v_mul_f64 v[8:9], v[34:35], s[0:1]
	v_mul_f64 v[4:5], v[4:5], s[0:1]
	s_waitcnt vmcnt(6) lgkmcnt(0)
	v_mul_f32_e32 v10, v1, v27
	v_fmac_f32_e32 v10, v0, v26
	v_mul_f32_e32 v0, v0, v27
	v_fma_f32 v0, v26, v1, -v0
	v_cvt_f64_f32_e32 v[10:11], v10
	v_cvt_f64_f32_e32 v[0:1], v0
	v_cvt_f32_f64_e32 v8, v[8:9]
	v_cvt_f32_f64_e32 v9, v[4:5]
	v_mul_f64 v[4:5], v[10:11], s[0:1]
	v_mul_f64 v[0:1], v[0:1], s[0:1]
	v_mov_b32_e32 v10, s3
	v_add_co_u32_e32 v6, vcc, s2, v6
	v_addc_co_u32_e32 v7, vcc, v7, v10, vcc
	global_store_dwordx2 v[6:7], v[8:9], off
	v_cvt_f32_f64_e32 v4, v[4:5]
	v_cvt_f32_f64_e32 v5, v[0:1]
	s_waitcnt vmcnt(6)
	v_mul_f32_e32 v0, v3, v29
	v_fmac_f32_e32 v0, v2, v28
	v_mul_f32_e32 v2, v2, v29
	v_fma_f32 v2, v28, v3, -v2
	v_cvt_f64_f32_e32 v[0:1], v0
	v_cvt_f64_f32_e32 v[2:3], v2
	v_mov_b32_e32 v8, s3
	v_add_co_u32_e32 v6, vcc, s2, v6
	v_mul_f64 v[0:1], v[0:1], s[0:1]
	v_mul_f64 v[2:3], v[2:3], s[0:1]
	v_addc_co_u32_e32 v7, vcc, v7, v8, vcc
	global_store_dwordx2 v[6:7], v[4:5], off
	s_waitcnt vmcnt(6)
	v_mul_f32_e32 v4, v25, v31
	v_mul_f32_e32 v8, v24, v31
	v_fmac_f32_e32 v4, v24, v30
	v_fma_f32 v8, v30, v25, -v8
	v_cvt_f64_f32_e32 v[4:5], v4
	v_cvt_f64_f32_e32 v[8:9], v8
	v_cvt_f32_f64_e32 v0, v[0:1]
	v_cvt_f32_f64_e32 v1, v[2:3]
	v_mul_f64 v[2:3], v[4:5], s[0:1]
	v_mul_f64 v[4:5], v[8:9], s[0:1]
	v_mov_b32_e32 v8, s3
	v_add_co_u32_e32 v6, vcc, s2, v6
	v_addc_co_u32_e32 v7, vcc, v7, v8, vcc
	global_store_dwordx2 v[6:7], v[0:1], off
	v_cvt_f32_f64_e32 v0, v[2:3]
	v_cvt_f32_f64_e32 v1, v[4:5]
	v_mov_b32_e32 v3, s3
	v_add_co_u32_e32 v2, vcc, s2, v6
	v_addc_co_u32_e32 v3, vcc, v7, v3, vcc
	global_store_dwordx2 v[2:3], v[0:1], off
.LBB0_23:
	s_endpgm
	.section	.rodata,"a",@progbits
	.p2align	6, 0x0
	.amdhsa_kernel bluestein_single_back_len336_dim1_sp_op_CI_CI
		.amdhsa_group_segment_fixed_size 5376
		.amdhsa_private_segment_fixed_size 0
		.amdhsa_kernarg_size 104
		.amdhsa_user_sgpr_count 6
		.amdhsa_user_sgpr_private_segment_buffer 1
		.amdhsa_user_sgpr_dispatch_ptr 0
		.amdhsa_user_sgpr_queue_ptr 0
		.amdhsa_user_sgpr_kernarg_segment_ptr 1
		.amdhsa_user_sgpr_dispatch_id 0
		.amdhsa_user_sgpr_flat_scratch_init 0
		.amdhsa_user_sgpr_private_segment_size 0
		.amdhsa_uses_dynamic_stack 0
		.amdhsa_system_sgpr_private_segment_wavefront_offset 0
		.amdhsa_system_sgpr_workgroup_id_x 1
		.amdhsa_system_sgpr_workgroup_id_y 0
		.amdhsa_system_sgpr_workgroup_id_z 0
		.amdhsa_system_sgpr_workgroup_info 0
		.amdhsa_system_vgpr_workitem_id 0
		.amdhsa_next_free_vgpr 58
		.amdhsa_next_free_sgpr 16
		.amdhsa_reserve_vcc 1
		.amdhsa_reserve_flat_scratch 0
		.amdhsa_float_round_mode_32 0
		.amdhsa_float_round_mode_16_64 0
		.amdhsa_float_denorm_mode_32 3
		.amdhsa_float_denorm_mode_16_64 3
		.amdhsa_dx10_clamp 1
		.amdhsa_ieee_mode 1
		.amdhsa_fp16_overflow 0
		.amdhsa_exception_fp_ieee_invalid_op 0
		.amdhsa_exception_fp_denorm_src 0
		.amdhsa_exception_fp_ieee_div_zero 0
		.amdhsa_exception_fp_ieee_overflow 0
		.amdhsa_exception_fp_ieee_underflow 0
		.amdhsa_exception_fp_ieee_inexact 0
		.amdhsa_exception_int_div_zero 0
	.end_amdhsa_kernel
	.text
.Lfunc_end0:
	.size	bluestein_single_back_len336_dim1_sp_op_CI_CI, .Lfunc_end0-bluestein_single_back_len336_dim1_sp_op_CI_CI
                                        ; -- End function
	.section	.AMDGPU.csdata,"",@progbits
; Kernel info:
; codeLenInByte = 5420
; NumSgprs: 20
; NumVgprs: 58
; ScratchSize: 0
; MemoryBound: 0
; FloatMode: 240
; IeeeMode: 1
; LDSByteSize: 5376 bytes/workgroup (compile time only)
; SGPRBlocks: 2
; VGPRBlocks: 14
; NumSGPRsForWavesPerEU: 20
; NumVGPRsForWavesPerEU: 58
; Occupancy: 4
; WaveLimiterHint : 1
; COMPUTE_PGM_RSRC2:SCRATCH_EN: 0
; COMPUTE_PGM_RSRC2:USER_SGPR: 6
; COMPUTE_PGM_RSRC2:TRAP_HANDLER: 0
; COMPUTE_PGM_RSRC2:TGID_X_EN: 1
; COMPUTE_PGM_RSRC2:TGID_Y_EN: 0
; COMPUTE_PGM_RSRC2:TGID_Z_EN: 0
; COMPUTE_PGM_RSRC2:TIDIG_COMP_CNT: 0
	.type	__hip_cuid_b90dacd663dbf775,@object ; @__hip_cuid_b90dacd663dbf775
	.section	.bss,"aw",@nobits
	.globl	__hip_cuid_b90dacd663dbf775
__hip_cuid_b90dacd663dbf775:
	.byte	0                               ; 0x0
	.size	__hip_cuid_b90dacd663dbf775, 1

	.ident	"AMD clang version 19.0.0git (https://github.com/RadeonOpenCompute/llvm-project roc-6.4.0 25133 c7fe45cf4b819c5991fe208aaa96edf142730f1d)"
	.section	".note.GNU-stack","",@progbits
	.addrsig
	.addrsig_sym __hip_cuid_b90dacd663dbf775
	.amdgpu_metadata
---
amdhsa.kernels:
  - .args:
      - .actual_access:  read_only
        .address_space:  global
        .offset:         0
        .size:           8
        .value_kind:     global_buffer
      - .actual_access:  read_only
        .address_space:  global
        .offset:         8
        .size:           8
        .value_kind:     global_buffer
      - .actual_access:  read_only
        .address_space:  global
        .offset:         16
        .size:           8
        .value_kind:     global_buffer
      - .actual_access:  read_only
        .address_space:  global
        .offset:         24
        .size:           8
        .value_kind:     global_buffer
      - .actual_access:  read_only
        .address_space:  global
        .offset:         32
        .size:           8
        .value_kind:     global_buffer
      - .offset:         40
        .size:           8
        .value_kind:     by_value
      - .address_space:  global
        .offset:         48
        .size:           8
        .value_kind:     global_buffer
      - .address_space:  global
        .offset:         56
        .size:           8
        .value_kind:     global_buffer
      - .address_space:  global
        .offset:         64
        .size:           8
        .value_kind:     global_buffer
      - .address_space:  global
        .offset:         72
        .size:           8
        .value_kind:     global_buffer
      - .offset:         80
        .size:           4
        .value_kind:     by_value
      - .address_space:  global
        .offset:         88
        .size:           8
        .value_kind:     global_buffer
      - .address_space:  global
        .offset:         96
        .size:           8
        .value_kind:     global_buffer
    .group_segment_fixed_size: 5376
    .kernarg_segment_align: 8
    .kernarg_segment_size: 104
    .language:       OpenCL C
    .language_version:
      - 2
      - 0
    .max_flat_workgroup_size: 112
    .name:           bluestein_single_back_len336_dim1_sp_op_CI_CI
    .private_segment_fixed_size: 0
    .sgpr_count:     20
    .sgpr_spill_count: 0
    .symbol:         bluestein_single_back_len336_dim1_sp_op_CI_CI.kd
    .uniform_work_group_size: 1
    .uses_dynamic_stack: false
    .vgpr_count:     58
    .vgpr_spill_count: 0
    .wavefront_size: 64
amdhsa.target:   amdgcn-amd-amdhsa--gfx906
amdhsa.version:
  - 1
  - 2
...

	.end_amdgpu_metadata
